;; amdgpu-corpus repo=ROCm/rocFFT kind=compiled arch=gfx1100 opt=O3
	.text
	.amdgcn_target "amdgcn-amd-amdhsa--gfx1100"
	.amdhsa_code_object_version 6
	.protected	fft_rtc_fwd_len297_factors_9_3_11_wgs_231_tpt_33_halfLds_dp_ip_CI_sbrr_dirReg ; -- Begin function fft_rtc_fwd_len297_factors_9_3_11_wgs_231_tpt_33_halfLds_dp_ip_CI_sbrr_dirReg
	.globl	fft_rtc_fwd_len297_factors_9_3_11_wgs_231_tpt_33_halfLds_dp_ip_CI_sbrr_dirReg
	.p2align	8
	.type	fft_rtc_fwd_len297_factors_9_3_11_wgs_231_tpt_33_halfLds_dp_ip_CI_sbrr_dirReg,@function
fft_rtc_fwd_len297_factors_9_3_11_wgs_231_tpt_33_halfLds_dp_ip_CI_sbrr_dirReg: ; @fft_rtc_fwd_len297_factors_9_3_11_wgs_231_tpt_33_halfLds_dp_ip_CI_sbrr_dirReg
; %bb.0:
	s_clause 0x1
	s_load_b64 s[12:13], s[0:1], 0x18
	s_load_b128 s[4:7], s[0:1], 0x0
	v_mul_u32_u24_e32 v1, 0x7c2, v0
	s_load_b64 s[10:11], s[0:1], 0x50
	s_waitcnt lgkmcnt(0)
	s_load_b64 s[8:9], s[12:13], 0x0
	s_delay_alu instid0(VALU_DEP_1) | instskip(SKIP_2) | instid1(VALU_DEP_3)
	v_lshrrev_b32_e32 v2, 16, v1
	v_mov_b32_e32 v1, 0
	v_cmp_lt_u64_e64 s2, s[6:7], 2
	v_mad_u64_u32 v[36:37], null, s15, 7, v[2:3]
	v_mov_b32_e32 v3, 0
	s_delay_alu instid0(VALU_DEP_4) | instskip(NEXT) | instid1(VALU_DEP_4)
	v_dual_mov_b32 v4, 0 :: v_dual_mov_b32 v37, v1
	s_and_b32 vcc_lo, exec_lo, s2
	s_delay_alu instid0(VALU_DEP_1)
	v_dual_mov_b32 v7, v36 :: v_dual_mov_b32 v8, v37
	s_cbranch_vccnz .LBB0_8
; %bb.1:
	s_load_b64 s[2:3], s[0:1], 0x10
	v_mov_b32_e32 v3, 0
	v_dual_mov_b32 v4, 0 :: v_dual_mov_b32 v5, v36
	s_add_u32 s14, s12, 8
	v_mov_b32_e32 v6, v37
	s_addc_u32 s15, s13, 0
	s_mov_b64 s[18:19], 1
	s_waitcnt lgkmcnt(0)
	s_add_u32 s16, s2, 8
	s_addc_u32 s17, s3, 0
.LBB0_2:                                ; =>This Inner Loop Header: Depth=1
	s_load_b64 s[20:21], s[16:17], 0x0
                                        ; implicit-def: $vgpr7_vgpr8
	s_mov_b32 s2, exec_lo
	s_waitcnt lgkmcnt(0)
	v_or_b32_e32 v2, s21, v6
	s_delay_alu instid0(VALU_DEP_1)
	v_cmpx_ne_u64_e32 0, v[1:2]
	s_xor_b32 s3, exec_lo, s2
	s_cbranch_execz .LBB0_4
; %bb.3:                                ;   in Loop: Header=BB0_2 Depth=1
	v_cvt_f32_u32_e32 v2, s20
	v_cvt_f32_u32_e32 v7, s21
	s_sub_u32 s2, 0, s20
	s_subb_u32 s22, 0, s21
	s_delay_alu instid0(VALU_DEP_1) | instskip(NEXT) | instid1(VALU_DEP_1)
	v_fmac_f32_e32 v2, 0x4f800000, v7
	v_rcp_f32_e32 v2, v2
	s_waitcnt_depctr 0xfff
	v_mul_f32_e32 v2, 0x5f7ffffc, v2
	s_delay_alu instid0(VALU_DEP_1) | instskip(NEXT) | instid1(VALU_DEP_1)
	v_mul_f32_e32 v7, 0x2f800000, v2
	v_trunc_f32_e32 v7, v7
	s_delay_alu instid0(VALU_DEP_1) | instskip(SKIP_1) | instid1(VALU_DEP_2)
	v_fmac_f32_e32 v2, 0xcf800000, v7
	v_cvt_u32_f32_e32 v7, v7
	v_cvt_u32_f32_e32 v2, v2
	s_delay_alu instid0(VALU_DEP_2) | instskip(NEXT) | instid1(VALU_DEP_2)
	v_mul_lo_u32 v8, s2, v7
	v_mul_hi_u32 v9, s2, v2
	v_mul_lo_u32 v10, s22, v2
	s_delay_alu instid0(VALU_DEP_2) | instskip(SKIP_1) | instid1(VALU_DEP_2)
	v_add_nc_u32_e32 v8, v9, v8
	v_mul_lo_u32 v9, s2, v2
	v_add_nc_u32_e32 v8, v8, v10
	s_delay_alu instid0(VALU_DEP_2) | instskip(NEXT) | instid1(VALU_DEP_2)
	v_mul_hi_u32 v10, v2, v9
	v_mul_lo_u32 v11, v2, v8
	v_mul_hi_u32 v12, v2, v8
	v_mul_hi_u32 v13, v7, v9
	v_mul_lo_u32 v9, v7, v9
	v_mul_hi_u32 v14, v7, v8
	v_mul_lo_u32 v8, v7, v8
	v_add_co_u32 v10, vcc_lo, v10, v11
	v_add_co_ci_u32_e32 v11, vcc_lo, 0, v12, vcc_lo
	s_delay_alu instid0(VALU_DEP_2) | instskip(NEXT) | instid1(VALU_DEP_2)
	v_add_co_u32 v9, vcc_lo, v10, v9
	v_add_co_ci_u32_e32 v9, vcc_lo, v11, v13, vcc_lo
	v_add_co_ci_u32_e32 v10, vcc_lo, 0, v14, vcc_lo
	s_delay_alu instid0(VALU_DEP_2) | instskip(NEXT) | instid1(VALU_DEP_2)
	v_add_co_u32 v8, vcc_lo, v9, v8
	v_add_co_ci_u32_e32 v9, vcc_lo, 0, v10, vcc_lo
	s_delay_alu instid0(VALU_DEP_2) | instskip(NEXT) | instid1(VALU_DEP_2)
	v_add_co_u32 v2, vcc_lo, v2, v8
	v_add_co_ci_u32_e32 v7, vcc_lo, v7, v9, vcc_lo
	s_delay_alu instid0(VALU_DEP_2) | instskip(SKIP_1) | instid1(VALU_DEP_3)
	v_mul_hi_u32 v8, s2, v2
	v_mul_lo_u32 v10, s22, v2
	v_mul_lo_u32 v9, s2, v7
	s_delay_alu instid0(VALU_DEP_1) | instskip(SKIP_1) | instid1(VALU_DEP_2)
	v_add_nc_u32_e32 v8, v8, v9
	v_mul_lo_u32 v9, s2, v2
	v_add_nc_u32_e32 v8, v8, v10
	s_delay_alu instid0(VALU_DEP_2) | instskip(NEXT) | instid1(VALU_DEP_2)
	v_mul_hi_u32 v10, v2, v9
	v_mul_lo_u32 v11, v2, v8
	v_mul_hi_u32 v12, v2, v8
	v_mul_hi_u32 v13, v7, v9
	v_mul_lo_u32 v9, v7, v9
	v_mul_hi_u32 v14, v7, v8
	v_mul_lo_u32 v8, v7, v8
	v_add_co_u32 v10, vcc_lo, v10, v11
	v_add_co_ci_u32_e32 v11, vcc_lo, 0, v12, vcc_lo
	s_delay_alu instid0(VALU_DEP_2) | instskip(NEXT) | instid1(VALU_DEP_2)
	v_add_co_u32 v9, vcc_lo, v10, v9
	v_add_co_ci_u32_e32 v9, vcc_lo, v11, v13, vcc_lo
	v_add_co_ci_u32_e32 v10, vcc_lo, 0, v14, vcc_lo
	s_delay_alu instid0(VALU_DEP_2) | instskip(NEXT) | instid1(VALU_DEP_2)
	v_add_co_u32 v8, vcc_lo, v9, v8
	v_add_co_ci_u32_e32 v9, vcc_lo, 0, v10, vcc_lo
	s_delay_alu instid0(VALU_DEP_2) | instskip(NEXT) | instid1(VALU_DEP_2)
	v_add_co_u32 v2, vcc_lo, v2, v8
	v_add_co_ci_u32_e32 v13, vcc_lo, v7, v9, vcc_lo
	s_delay_alu instid0(VALU_DEP_2) | instskip(SKIP_1) | instid1(VALU_DEP_3)
	v_mul_hi_u32 v14, v5, v2
	v_mad_u64_u32 v[9:10], null, v6, v2, 0
	v_mad_u64_u32 v[7:8], null, v5, v13, 0
	;; [unrolled: 1-line block ×3, first 2 shown]
	s_delay_alu instid0(VALU_DEP_2) | instskip(NEXT) | instid1(VALU_DEP_3)
	v_add_co_u32 v2, vcc_lo, v14, v7
	v_add_co_ci_u32_e32 v7, vcc_lo, 0, v8, vcc_lo
	s_delay_alu instid0(VALU_DEP_2) | instskip(NEXT) | instid1(VALU_DEP_2)
	v_add_co_u32 v2, vcc_lo, v2, v9
	v_add_co_ci_u32_e32 v2, vcc_lo, v7, v10, vcc_lo
	v_add_co_ci_u32_e32 v7, vcc_lo, 0, v12, vcc_lo
	s_delay_alu instid0(VALU_DEP_2) | instskip(NEXT) | instid1(VALU_DEP_2)
	v_add_co_u32 v2, vcc_lo, v2, v11
	v_add_co_ci_u32_e32 v9, vcc_lo, 0, v7, vcc_lo
	s_delay_alu instid0(VALU_DEP_2) | instskip(SKIP_1) | instid1(VALU_DEP_3)
	v_mul_lo_u32 v10, s21, v2
	v_mad_u64_u32 v[7:8], null, s20, v2, 0
	v_mul_lo_u32 v11, s20, v9
	s_delay_alu instid0(VALU_DEP_2) | instskip(NEXT) | instid1(VALU_DEP_2)
	v_sub_co_u32 v7, vcc_lo, v5, v7
	v_add3_u32 v8, v8, v11, v10
	s_delay_alu instid0(VALU_DEP_1) | instskip(NEXT) | instid1(VALU_DEP_1)
	v_sub_nc_u32_e32 v10, v6, v8
	v_subrev_co_ci_u32_e64 v10, s2, s21, v10, vcc_lo
	v_add_co_u32 v11, s2, v2, 2
	s_delay_alu instid0(VALU_DEP_1) | instskip(SKIP_3) | instid1(VALU_DEP_3)
	v_add_co_ci_u32_e64 v12, s2, 0, v9, s2
	v_sub_co_u32 v13, s2, v7, s20
	v_sub_co_ci_u32_e32 v8, vcc_lo, v6, v8, vcc_lo
	v_subrev_co_ci_u32_e64 v10, s2, 0, v10, s2
	v_cmp_le_u32_e32 vcc_lo, s20, v13
	s_delay_alu instid0(VALU_DEP_3) | instskip(SKIP_1) | instid1(VALU_DEP_4)
	v_cmp_eq_u32_e64 s2, s21, v8
	v_cndmask_b32_e64 v13, 0, -1, vcc_lo
	v_cmp_le_u32_e32 vcc_lo, s21, v10
	v_cndmask_b32_e64 v14, 0, -1, vcc_lo
	v_cmp_le_u32_e32 vcc_lo, s20, v7
	;; [unrolled: 2-line block ×3, first 2 shown]
	v_cndmask_b32_e64 v15, 0, -1, vcc_lo
	v_cmp_eq_u32_e32 vcc_lo, s21, v10
	s_delay_alu instid0(VALU_DEP_2) | instskip(SKIP_3) | instid1(VALU_DEP_3)
	v_cndmask_b32_e64 v7, v15, v7, s2
	v_cndmask_b32_e32 v10, v14, v13, vcc_lo
	v_add_co_u32 v13, vcc_lo, v2, 1
	v_add_co_ci_u32_e32 v14, vcc_lo, 0, v9, vcc_lo
	v_cmp_ne_u32_e32 vcc_lo, 0, v10
	s_delay_alu instid0(VALU_DEP_2) | instskip(NEXT) | instid1(VALU_DEP_4)
	v_cndmask_b32_e32 v8, v14, v12, vcc_lo
	v_cndmask_b32_e32 v10, v13, v11, vcc_lo
	v_cmp_ne_u32_e32 vcc_lo, 0, v7
	s_delay_alu instid0(VALU_DEP_2)
	v_dual_cndmask_b32 v7, v2, v10 :: v_dual_cndmask_b32 v8, v9, v8
.LBB0_4:                                ;   in Loop: Header=BB0_2 Depth=1
	s_and_not1_saveexec_b32 s2, s3
	s_cbranch_execz .LBB0_6
; %bb.5:                                ;   in Loop: Header=BB0_2 Depth=1
	v_cvt_f32_u32_e32 v2, s20
	s_sub_i32 s3, 0, s20
	s_delay_alu instid0(VALU_DEP_1) | instskip(SKIP_2) | instid1(VALU_DEP_1)
	v_rcp_iflag_f32_e32 v2, v2
	s_waitcnt_depctr 0xfff
	v_mul_f32_e32 v2, 0x4f7ffffe, v2
	v_cvt_u32_f32_e32 v2, v2
	s_delay_alu instid0(VALU_DEP_1) | instskip(NEXT) | instid1(VALU_DEP_1)
	v_mul_lo_u32 v7, s3, v2
	v_mul_hi_u32 v7, v2, v7
	s_delay_alu instid0(VALU_DEP_1) | instskip(NEXT) | instid1(VALU_DEP_1)
	v_add_nc_u32_e32 v2, v2, v7
	v_mul_hi_u32 v2, v5, v2
	s_delay_alu instid0(VALU_DEP_1) | instskip(SKIP_1) | instid1(VALU_DEP_2)
	v_mul_lo_u32 v7, v2, s20
	v_add_nc_u32_e32 v8, 1, v2
	v_sub_nc_u32_e32 v7, v5, v7
	s_delay_alu instid0(VALU_DEP_1) | instskip(SKIP_1) | instid1(VALU_DEP_2)
	v_subrev_nc_u32_e32 v9, s20, v7
	v_cmp_le_u32_e32 vcc_lo, s20, v7
	v_dual_cndmask_b32 v7, v7, v9 :: v_dual_cndmask_b32 v2, v2, v8
	s_delay_alu instid0(VALU_DEP_1) | instskip(NEXT) | instid1(VALU_DEP_2)
	v_cmp_le_u32_e32 vcc_lo, s20, v7
	v_add_nc_u32_e32 v8, 1, v2
	s_delay_alu instid0(VALU_DEP_1)
	v_dual_cndmask_b32 v7, v2, v8 :: v_dual_mov_b32 v8, v1
.LBB0_6:                                ;   in Loop: Header=BB0_2 Depth=1
	s_or_b32 exec_lo, exec_lo, s2
	s_load_b64 s[2:3], s[14:15], 0x0
	s_delay_alu instid0(VALU_DEP_1) | instskip(NEXT) | instid1(VALU_DEP_2)
	v_mul_lo_u32 v2, v8, s20
	v_mul_lo_u32 v11, v7, s21
	v_mad_u64_u32 v[9:10], null, v7, s20, 0
	s_add_u32 s18, s18, 1
	s_addc_u32 s19, s19, 0
	s_add_u32 s14, s14, 8
	s_addc_u32 s15, s15, 0
	;; [unrolled: 2-line block ×3, first 2 shown]
	s_delay_alu instid0(VALU_DEP_1) | instskip(SKIP_1) | instid1(VALU_DEP_2)
	v_add3_u32 v2, v10, v11, v2
	v_sub_co_u32 v9, vcc_lo, v5, v9
	v_sub_co_ci_u32_e32 v2, vcc_lo, v6, v2, vcc_lo
	s_waitcnt lgkmcnt(0)
	s_delay_alu instid0(VALU_DEP_2) | instskip(NEXT) | instid1(VALU_DEP_2)
	v_mul_lo_u32 v10, s3, v9
	v_mul_lo_u32 v2, s2, v2
	v_mad_u64_u32 v[5:6], null, s2, v9, v[3:4]
	v_cmp_ge_u64_e64 s2, s[18:19], s[6:7]
	s_delay_alu instid0(VALU_DEP_1) | instskip(NEXT) | instid1(VALU_DEP_2)
	s_and_b32 vcc_lo, exec_lo, s2
	v_add3_u32 v4, v10, v6, v2
	s_delay_alu instid0(VALU_DEP_3)
	v_mov_b32_e32 v3, v5
	s_cbranch_vccnz .LBB0_8
; %bb.7:                                ;   in Loop: Header=BB0_2 Depth=1
	v_dual_mov_b32 v5, v7 :: v_dual_mov_b32 v6, v8
	s_branch .LBB0_2
.LBB0_8:
	s_lshl_b64 s[2:3], s[6:7], 3
	v_mul_hi_u32 v1, 0x7c1f07d, v0
	s_add_u32 s2, s12, s2
	s_addc_u32 s3, s13, s3
	s_load_b64 s[2:3], s[2:3], 0x0
	s_load_b64 s[0:1], s[0:1], 0x20
	s_delay_alu instid0(VALU_DEP_1) | instskip(NEXT) | instid1(VALU_DEP_1)
	v_mul_u32_u24_e32 v5, 33, v1
	v_sub_nc_u32_e32 v86, v0, v5
	s_delay_alu instid0(VALU_DEP_1)
	v_add_nc_u32_e32 v37, 33, v86
	v_add_nc_u32_e32 v38, 0x42, v86
	s_waitcnt lgkmcnt(0)
	v_mul_lo_u32 v6, s2, v8
	v_mul_lo_u32 v9, s3, v7
	v_mad_u64_u32 v[1:2], null, s2, v7, v[3:4]
	v_cmp_gt_u64_e32 vcc_lo, s[0:1], v[7:8]
	v_cmp_le_u64_e64 s0, s[0:1], v[7:8]
	s_delay_alu instid0(VALU_DEP_3) | instskip(NEXT) | instid1(VALU_DEP_2)
	v_add3_u32 v2, v9, v2, v6
	s_and_saveexec_b32 s1, s0
	s_delay_alu instid0(SALU_CYCLE_1)
	s_xor_b32 s0, exec_lo, s1
; %bb.9:
	v_add_nc_u32_e32 v37, 33, v86
	v_add_nc_u32_e32 v38, 0x42, v86
; %bb.10:
	s_or_saveexec_b32 s1, s0
	v_lshlrev_b64 v[80:81], 4, v[1:2]
                                        ; implicit-def: $vgpr34_vgpr35
                                        ; implicit-def: $vgpr30_vgpr31
                                        ; implicit-def: $vgpr26_vgpr27
                                        ; implicit-def: $vgpr6_vgpr7
                                        ; implicit-def: $vgpr10_vgpr11
                                        ; implicit-def: $vgpr14_vgpr15
                                        ; implicit-def: $vgpr18_vgpr19
                                        ; implicit-def: $vgpr22_vgpr23
                                        ; implicit-def: $vgpr2_vgpr3
	s_xor_b32 exec_lo, exec_lo, s1
	s_cbranch_execz .LBB0_12
; %bb.11:
	v_mad_u64_u32 v[0:1], null, s8, v86, 0
	v_mad_u64_u32 v[2:3], null, s8, v37, 0
	;; [unrolled: 1-line block ×3, first 2 shown]
	v_add_nc_u32_e32 v11, 0x63, v86
	v_add_nc_u32_e32 v35, 0xe7, v86
	v_add_co_u32 v33, s0, s10, v80
	v_mad_u64_u32 v[6:7], null, s9, v86, v[1:2]
	v_mad_u64_u32 v[7:8], null, s9, v37, v[3:4]
	v_mov_b32_e32 v3, v5
	v_mad_u64_u32 v[8:9], null, s8, v11, 0
	s_delay_alu instid0(VALU_DEP_4) | instskip(NEXT) | instid1(VALU_DEP_3)
	v_dual_mov_b32 v1, v6 :: v_dual_add_nc_u32 v14, 0xa5, v86
	v_mad_u64_u32 v[5:6], null, s9, v38, v[3:4]
	v_add_co_ci_u32_e64 v34, s0, s11, v81, s0
	s_delay_alu instid0(VALU_DEP_3) | instskip(SKIP_4) | instid1(VALU_DEP_4)
	v_mad_u64_u32 v[24:25], null, s8, v14, 0
	v_mov_b32_e32 v3, v7
	v_lshlrev_b64 v[0:1], 4, v[0:1]
	v_mov_b32_e32 v6, v9
	v_mad_u64_u32 v[28:29], null, s8, v35, 0
	v_lshlrev_b64 v[2:3], 4, v[2:3]
	v_add_nc_u32_e32 v13, 0x84, v86
	v_add_co_u32 v0, s0, v33, v0
	v_mad_u64_u32 v[9:10], null, s9, v11, v[6:7]
	v_add_co_ci_u32_e64 v1, s0, v34, v1, s0
	s_delay_alu instid0(VALU_DEP_4)
	v_mad_u64_u32 v[10:11], null, s8, v13, 0
	v_add_co_u32 v6, s0, v33, v2
	v_add_nc_u32_e32 v15, 0xc6, v86
	v_add_co_ci_u32_e64 v7, s0, v34, v3, s0
	v_lshlrev_b64 v[4:5], 4, v[4:5]
	s_clause 0x1
	global_load_b128 v[0:3], v[0:1], off
	global_load_b128 v[20:23], v[6:7], off
	v_lshlrev_b64 v[7:8], 4, v[8:9]
	v_mad_u64_u32 v[26:27], null, s8, v15, 0
	v_mov_b32_e32 v6, v11
	v_add_co_u32 v4, s0, v33, v4
	s_delay_alu instid0(VALU_DEP_1) | instskip(NEXT) | instid1(VALU_DEP_3)
	v_add_co_ci_u32_e64 v5, s0, v34, v5, s0
	v_mad_u64_u32 v[11:12], null, s9, v13, v[6:7]
	v_add_co_u32 v6, s0, v33, v7
	s_delay_alu instid0(VALU_DEP_1) | instskip(SKIP_2) | instid1(VALU_DEP_2)
	v_add_co_ci_u32_e64 v7, s0, v34, v8, s0
	v_dual_mov_b32 v8, v25 :: v_dual_mov_b32 v9, v27
	v_add_nc_u32_e32 v39, 0x108, v86
	v_mad_u64_u32 v[30:31], null, s9, v14, v[8:9]
	v_mad_u64_u32 v[31:32], null, s9, v15, v[9:10]
	s_delay_alu instid0(VALU_DEP_3)
	v_mad_u64_u32 v[8:9], null, s8, v39, 0
	s_clause 0x1
	global_load_b128 v[16:19], v[4:5], off
	global_load_b128 v[12:15], v[6:7], off
	v_lshlrev_b64 v[5:6], 4, v[10:11]
	v_dual_mov_b32 v4, v29 :: v_dual_mov_b32 v25, v30
	v_mov_b32_e32 v27, v31
	s_delay_alu instid0(VALU_DEP_2)
	v_mad_u64_u32 v[10:11], null, s9, v35, v[4:5]
	v_mov_b32_e32 v4, v9
	v_add_co_u32 v5, s0, v33, v5
	v_lshlrev_b64 v[24:25], 4, v[24:25]
	v_lshlrev_b64 v[26:27], 4, v[26:27]
	v_add_co_ci_u32_e64 v6, s0, v34, v6, s0
	s_delay_alu instid0(VALU_DEP_4) | instskip(SKIP_2) | instid1(VALU_DEP_1)
	v_mad_u64_u32 v[30:31], null, s9, v39, v[4:5]
	v_mov_b32_e32 v29, v10
	v_add_co_u32 v24, s0, v33, v24
	v_add_co_ci_u32_e64 v25, s0, v34, v25, s0
	s_delay_alu instid0(VALU_DEP_3) | instskip(SKIP_2) | instid1(VALU_DEP_1)
	v_lshlrev_b64 v[10:11], 4, v[28:29]
	v_mov_b32_e32 v9, v30
	v_add_co_u32 v26, s0, v33, v26
	v_add_co_ci_u32_e64 v27, s0, v34, v27, s0
	s_delay_alu instid0(VALU_DEP_3) | instskip(SKIP_1) | instid1(VALU_DEP_1)
	v_lshlrev_b64 v[7:8], 4, v[8:9]
	v_add_co_u32 v28, s0, v33, v10
	v_add_co_ci_u32_e64 v29, s0, v34, v11, s0
	s_delay_alu instid0(VALU_DEP_3) | instskip(NEXT) | instid1(VALU_DEP_1)
	v_add_co_u32 v32, s0, v33, v7
	v_add_co_ci_u32_e64 v33, s0, v34, v8, s0
	s_clause 0x4
	global_load_b128 v[8:11], v[5:6], off
	global_load_b128 v[4:7], v[24:25], off
	;; [unrolled: 1-line block ×5, first 2 shown]
.LBB0_12:
	s_or_b32 exec_lo, exec_lo, s1
	s_waitcnt vmcnt(0)
	v_add_f64 v[39:40], v[20:21], -v[32:33]
	v_add_f64 v[41:42], v[22:23], -v[34:35]
	v_add_f64 v[20:21], v[32:33], v[20:21]
	v_add_f64 v[43:44], v[10:11], -v[6:7]
	v_add_f64 v[45:46], v[28:29], v[16:17]
	v_add_f64 v[47:48], v[6:7], v[10:11]
	v_add_f64 v[49:50], v[8:9], -v[4:5]
	v_add_f64 v[51:52], v[30:31], v[18:19]
	v_add_f64 v[32:33], v[4:5], v[8:9]
	;; [unrolled: 1-line block ×3, first 2 shown]
	s_mov_b32 s0, 0x8c811c17
	s_mov_b32 s6, 0xa2cf5039
	s_mov_b32 s3, 0x3fe491b7
	s_mov_b32 s2, 0x523c161c
	s_mov_b32 s1, 0x3fef838b
	s_mov_b32 s7, 0x3fe8836f
	v_add_f64 v[18:19], v[18:19], -v[30:31]
	v_add_f64 v[16:17], v[16:17], -v[28:29]
	v_add_f64 v[71:72], v[24:25], v[12:13]
	v_add_f64 v[73:74], v[14:15], -v[26:27]
	v_add_f64 v[14:15], v[26:27], v[14:15]
	v_add_f64 v[12:13], v[12:13], -v[24:25]
	s_mov_b32 s12, 0x42522d1b
	s_mov_b32 s13, 0xbfee11f6
	v_mul_f64 v[30:31], v[39:40], s[2:3]
	v_mul_f64 v[34:35], v[41:42], s[2:3]
	v_fma_f64 v[53:54], v[20:21], s[6:7], v[0:1]
	v_mul_f64 v[57:58], v[43:44], s[0:1]
	v_fma_f64 v[59:60], v[45:46], s[6:7], v[0:1]
	s_mov_b32 s3, 0xbfe491b7
	v_fma_f64 v[28:29], v[47:48], s[6:7], v[2:3]
	v_mul_f64 v[63:64], v[49:50], s[0:1]
	v_fma_f64 v[65:66], v[51:52], s[6:7], v[2:3]
	v_fma_f64 v[55:56], v[32:33], s[6:7], v[0:1]
	v_mul_f64 v[61:62], v[43:44], s[2:3]
	v_mul_f64 v[67:68], v[49:50], s[2:3]
	v_fma_f64 v[69:70], v[22:23], s[6:7], v[2:3]
	s_mov_b32 s6, 0x7e0b738b
	s_mov_b32 s7, 0x3fc63a1a
	v_add_f64 v[75:76], v[45:46], v[20:21]
	v_add_f64 v[26:27], v[51:52], v[22:23]
	v_add_f64 v[77:78], v[71:72], v[0:1]
	v_fma_f64 v[24:25], v[16:17], s[0:1], v[30:31]
	v_fma_f64 v[34:35], v[18:19], s[0:1], v[34:35]
	;; [unrolled: 1-line block ×3, first 2 shown]
	v_fma_f64 v[57:58], v[18:19], s[2:3], -v[57:58]
	v_fma_f64 v[59:60], v[32:33], s[6:7], v[59:60]
	v_fma_f64 v[28:29], v[22:23], s[6:7], v[28:29]
	v_fma_f64 v[30:31], v[16:17], s[2:3], -v[63:64]
	v_fma_f64 v[63:64], v[47:48], s[6:7], v[65:66]
	v_fma_f64 v[55:56], v[20:21], s[6:7], v[55:56]
	;; [unrolled: 1-line block ×5, first 2 shown]
	s_mov_b32 s3, 0x3febb67a
	s_mov_b32 s2, 0xe8584cab
	v_add_f64 v[82:83], v[32:33], v[75:76]
	v_add_f64 v[75:76], v[71:72], v[75:76]
	;; [unrolled: 1-line block ×4, first 2 shown]
	s_mov_b32 s7, 0xbfebb67a
	s_mov_b32 s6, s2
	v_add_f64 v[69:70], v[43:44], v[41:42]
	s_mov_b32 s0, 0x748a0bf8
	s_mov_b32 s1, 0x3fd5e3a8
	v_fma_f64 v[24:25], v[12:13], s[2:3], v[24:25]
	v_fma_f64 v[34:35], v[73:74], s[2:3], v[34:35]
	v_fma_f64 v[53:54], v[71:72], -0.5, v[53:54]
	v_fma_f64 v[57:58], v[73:74], s[2:3], v[57:58]
	v_fma_f64 v[59:60], v[71:72], -0.5, v[59:60]
	v_fma_f64 v[28:29], v[14:15], -0.5, v[28:29]
	v_fma_f64 v[30:31], v[12:13], s[2:3], v[30:31]
	v_fma_f64 v[63:64], v[14:15], -0.5, v[63:64]
	v_fma_f64 v[55:56], v[71:72], -0.5, v[55:56]
	v_fma_f64 v[61:62], v[73:74], s[6:7], v[61:62]
	v_add_f64 v[71:72], v[49:50], v[39:40]
	v_add_f64 v[73:74], v[14:15], v[2:3]
	v_fma_f64 v[12:13], v[12:13], s[6:7], v[65:66]
	v_fma_f64 v[14:15], v[14:15], -0.5, v[67:68]
	v_fma_f64 v[67:68], v[82:83], -0.5, v[77:78]
	v_add_f64 v[8:9], v[8:9], v[75:76]
	v_add_f64 v[10:11], v[10:11], v[26:27]
	v_add_f64 v[65:66], v[69:70], -v[18:19]
	v_fma_f64 v[24:25], v[49:50], s[0:1], v[24:25]
	v_fma_f64 v[34:35], v[43:44], s[0:1], v[34:35]
	;; [unrolled: 1-line block ×10, first 2 shown]
	v_add_f64 v[45:46], v[71:72], -v[16:17]
	v_fma_f64 v[53:54], v[84:85], -0.5, v[73:74]
	v_fma_f64 v[12:13], v[16:17], s[0:1], v[12:13]
	v_fma_f64 v[14:15], v[47:48], s[12:13], v[14:15]
	v_mul_hi_u32 v47, 0x24924925, v36
	v_add_f64 v[4:5], v[4:5], v[8:9]
	v_cmp_gt_u32_e64 s0, 27, v86
	v_add_f64 v[6:7], v[6:7], v[10:11]
	v_and_b32_e32 v11, 0xff, v86
	v_mul_f64 v[16:17], v[65:66], s[2:3]
	v_fma_f64 v[8:9], v[65:66], s[2:3], v[67:68]
	v_sub_nc_u32_e32 v39, v36, v47
	s_delay_alu instid0(VALU_DEP_4) | instskip(NEXT) | instid1(VALU_DEP_2)
	v_mul_lo_u16 v11, v11, 57
	v_lshrrev_b32_e32 v48, 1, v39
	s_delay_alu instid0(VALU_DEP_2) | instskip(NEXT) | instid1(VALU_DEP_2)
	v_lshrrev_b16 v76, 9, v11
	v_add_nc_u32_e32 v10, v48, v47
	s_delay_alu instid0(VALU_DEP_1) | instskip(SKIP_2) | instid1(VALU_DEP_3)
	v_lshrrev_b32_e32 v10, 2, v10
	v_add_f64 v[30:31], v[34:35], v[32:33]
	v_add_f64 v[20:21], v[41:42], v[20:21]
	v_mul_lo_u32 v47, v10, 7
	v_add_f64 v[22:23], v[22:23], -v[28:29]
	v_add_f64 v[32:33], v[18:19], v[43:44]
	v_mul_f64 v[39:40], v[45:46], s[2:3]
	v_fma_f64 v[43:44], v[45:46], s[6:7], v[53:54]
	v_add_f64 v[26:27], v[26:27], -v[12:13]
	v_add_f64 v[14:15], v[14:15], -v[24:25]
	v_and_b32_e32 v45, 0xff, v37
	v_add_f64 v[0:1], v[0:1], v[4:5]
	v_and_b32_e32 v46, 0xff, v38
	s_mov_b32 s2, 0xe8584caa
	s_delay_alu instid0(VALU_DEP_3)
	v_mul_lo_u16 v45, v45, 57
	s_mov_b32 s6, s2
	v_fma_f64 v[4:5], v[16:17], -2.0, v[8:9]
	v_sub_nc_u32_e32 v16, v36, v47
	v_mul_lo_u16 v46, v46, 57
	v_lshrrev_b16 v77, 9, v45
	s_delay_alu instid0(VALU_DEP_3) | instskip(NEXT) | instid1(VALU_DEP_3)
	v_mul_u32_u24_e32 v16, 0x129, v16
	v_lshrrev_b16 v78, 9, v46
	s_delay_alu instid0(VALU_DEP_3) | instskip(NEXT) | instid1(VALU_DEP_3)
	v_mul_lo_u16 v36, v77, 9
	v_lshlrev_b32_e32 v79, 3, v16
	s_delay_alu instid0(VALU_DEP_3) | instskip(NEXT) | instid1(VALU_DEP_3)
	v_mul_lo_u16 v45, v78, 9
	v_sub_nc_u16 v36, v37, v36
	s_delay_alu instid0(VALU_DEP_1)
	v_and_b32_e32 v85, 0xff, v36
	v_fma_f64 v[10:11], v[34:35], -2.0, v[30:31]
	v_fma_f64 v[34:35], v[41:42], -2.0, v[20:21]
	v_add_f64 v[41:42], v[2:3], v[6:7]
	v_add_nc_u32_e32 v2, 0, v79
	v_lshlrev_b32_e32 v6, 6, v86
	v_fma_f64 v[28:29], v[28:29], 2.0, v[22:23]
	v_sub_nc_u16 v3, v38, v45
	v_fma_f64 v[17:18], v[18:19], -2.0, v[32:33]
	v_mul_lo_u16 v19, v76, 9
	v_fma_f64 v[39:40], v[39:40], 2.0, v[43:44]
	v_fma_f64 v[12:13], v[12:13], 2.0, v[26:27]
	;; [unrolled: 1-line block ×3, first 2 shown]
	v_and_b32_e32 v87, 0xff, v3
	v_sub_nc_u16 v19, v86, v19
	v_lshlrev_b32_e32 v45, 5, v85
	v_lshl_add_u32 v51, v86, 3, v2
	v_lshl_add_u32 v88, v37, 3, v2
	v_lshlrev_b32_e32 v52, 5, v87
	v_and_b32_e32 v84, 0xff, v19
	v_mad_u32_u24 v19, 0x48, v86, v2
	v_lshl_add_u32 v89, v38, 3, v2
	ds_store_2addr_b64 v19, v[0:1], v[30:31] offset1:1
	ds_store_2addr_b64 v19, v[32:33], v[8:9] offset0:2 offset1:3
	ds_store_b64 v19, v[10:11] offset:64
	ds_store_2addr_b64 v19, v[20:21], v[34:35] offset0:4 offset1:5
	ds_store_2addr_b64 v19, v[4:5], v[17:18] offset0:6 offset1:7
	v_sub_nc_u32_e32 v50, v19, v6
	v_lshlrev_b32_e32 v36, 5, v84
	s_waitcnt lgkmcnt(0)
	s_barrier
	buffer_gl0_inv
	v_add_nc_u32_e32 v16, 0x400, v50
	ds_load_2addr_b64 v[0:3], v50 offset0:99 offset1:132
	ds_load_2addr_b64 v[4:7], v50 offset0:165 offset1:198
	;; [unrolled: 1-line block ×3, first 2 shown]
	ds_load_b64 v[48:49], v51
	ds_load_b64 v[64:65], v88
	;; [unrolled: 1-line block ×3, first 2 shown]
	s_waitcnt lgkmcnt(0)
	s_barrier
	buffer_gl0_inv
	ds_store_2addr_b64 v19, v[41:42], v[14:15] offset1:1
	ds_store_2addr_b64 v19, v[26:27], v[43:44] offset0:2 offset1:3
	ds_store_2addr_b64 v19, v[22:23], v[28:29] offset0:4 offset1:5
	;; [unrolled: 1-line block ×3, first 2 shown]
	ds_store_b64 v19, v[24:25] offset:64
	s_waitcnt lgkmcnt(0)
	s_barrier
	buffer_gl0_inv
	s_clause 0x5
	global_load_b128 v[12:15], v36, s[4:5]
	global_load_b128 v[17:20], v36, s[4:5] offset:16
	global_load_b128 v[30:33], v45, s[4:5]
	global_load_b128 v[40:43], v45, s[4:5] offset:16
	;; [unrolled: 2-line block ×3, first 2 shown]
	ds_load_2addr_b64 v[36:39], v50 offset0:99 offset1:132
	ds_load_2addr_b64 v[56:59], v50 offset0:165 offset1:198
	;; [unrolled: 1-line block ×3, first 2 shown]
	s_waitcnt vmcnt(5) lgkmcnt(2)
	v_mul_f64 v[21:22], v[36:37], v[14:15]
	s_waitcnt vmcnt(4) lgkmcnt(1)
	v_mul_f64 v[23:24], v[58:59], v[19:20]
	s_waitcnt vmcnt(3)
	v_mul_f64 v[25:26], v[38:39], v[32:33]
	s_waitcnt vmcnt(2) lgkmcnt(0)
	v_mul_f64 v[27:28], v[60:61], v[42:43]
	s_waitcnt vmcnt(1)
	v_mul_f64 v[68:69], v[56:57], v[46:47]
	s_waitcnt vmcnt(0)
	v_mul_f64 v[70:71], v[62:63], v[54:55]
	v_mul_f64 v[14:15], v[0:1], v[14:15]
	v_mul_f64 v[72:73], v[6:7], v[19:20]
	v_mul_f64 v[74:75], v[2:3], v[32:33]
	v_mul_f64 v[42:43], v[8:9], v[42:43]
	v_mul_f64 v[46:47], v[4:5], v[46:47]
	v_mul_f64 v[54:55], v[10:11], v[54:55]
	v_and_b32_e32 v19, 0xffff, v78
	s_delay_alu instid0(VALU_DEP_1)
	v_mad_u32_u24 v19, 0xd8, v19, 0
	v_fma_f64 v[32:33], v[0:1], v[12:13], -v[21:22]
	v_fma_f64 v[34:35], v[6:7], v[17:18], -v[23:24]
	;; [unrolled: 1-line block ×6, first 2 shown]
	v_fma_f64 v[36:37], v[36:37], v[12:13], v[14:15]
	v_fma_f64 v[22:23], v[58:59], v[17:18], v[72:73]
	;; [unrolled: 1-line block ×6, first 2 shown]
	v_lshlrev_b32_e32 v52, 3, v84
	v_lshlrev_b32_e32 v53, 3, v85
	;; [unrolled: 1-line block ×3, first 2 shown]
	v_add_f64 v[6:7], v[48:49], v[32:33]
	v_add_f64 v[0:1], v[32:33], v[34:35]
	;; [unrolled: 1-line block ×6, first 2 shown]
	v_add_f64 v[8:9], v[36:37], -v[22:23]
	v_add_f64 v[17:18], v[38:39], -v[30:31]
	;; [unrolled: 1-line block ×3, first 2 shown]
	v_add_f64 v[82:83], v[6:7], v[34:35]
	v_fma_f64 v[14:15], v[0:1], -0.5, v[48:49]
	v_add_f64 v[0:1], v[10:11], v[28:29]
	v_fma_f64 v[44:45], v[2:3], -0.5, v[64:65]
	;; [unrolled: 2-line block ×3, first 2 shown]
	v_fma_f64 v[12:13], v[8:9], s[2:3], v[14:15]
	v_fma_f64 v[14:15], v[8:9], s[6:7], v[14:15]
	;; [unrolled: 1-line block ×6, first 2 shown]
	ds_load_b64 v[48:49], v51
	ds_load_b64 v[46:47], v88
	;; [unrolled: 1-line block ×3, first 2 shown]
	v_and_b32_e32 v17, 0xffff, v76
	v_and_b32_e32 v18, 0xffff, v77
	s_waitcnt lgkmcnt(0)
	s_barrier
	buffer_gl0_inv
	v_mad_u32_u24 v17, 0xd8, v17, 0
	v_mad_u32_u24 v18, 0xd8, v18, 0
	s_delay_alu instid0(VALU_DEP_2) | instskip(NEXT) | instid1(VALU_DEP_2)
	v_add3_u32 v54, v17, v52, v79
	v_add3_u32 v53, v18, v53, v79
	;; [unrolled: 1-line block ×3, first 2 shown]
	ds_store_2addr_b64 v54, v[82:83], v[12:13] offset1:9
	ds_store_b64 v54, v[14:15] offset:144
	ds_store_2addr_b64 v53, v[0:1], v[2:3] offset1:9
	ds_store_b64 v53, v[4:5] offset:144
	;; [unrolled: 2-line block ×3, first 2 shown]
	s_waitcnt lgkmcnt(0)
	s_barrier
	buffer_gl0_inv
                                        ; implicit-def: $vgpr18_vgpr19
	s_and_saveexec_b32 s1, s0
	s_cbranch_execz .LBB0_14
; %bb.13:
	ds_load_b64 v[82:83], v51
	ds_load_2addr_b64 v[12:15], v50 offset0:27 offset1:54
	ds_load_2addr_b64 v[0:3], v50 offset0:81 offset1:108
	;; [unrolled: 1-line block ×5, first 2 shown]
.LBB0_14:
	s_or_b32 exec_lo, exec_lo, s1
	v_add_f64 v[55:56], v[36:37], v[22:23]
	v_add_f64 v[57:58], v[38:39], v[30:31]
	v_add_f64 v[59:60], v[40:41], v[42:43]
	v_add_f64 v[36:37], v[48:49], v[36:37]
	v_add_f64 v[32:33], v[32:33], -v[34:35]
	v_add_f64 v[34:35], v[46:47], v[38:39]
	v_add_f64 v[38:39], v[44:45], v[40:41]
	v_add_f64 v[24:25], v[24:25], -v[28:29]
	s_waitcnt lgkmcnt(0)
	s_barrier
	buffer_gl0_inv
	v_fma_f64 v[40:41], v[55:56], -0.5, v[48:49]
	v_fma_f64 v[28:29], v[57:58], -0.5, v[46:47]
	v_add_f64 v[46:47], v[20:21], -v[26:27]
	v_fma_f64 v[44:45], v[59:60], -0.5, v[44:45]
	v_add_f64 v[84:85], v[36:37], v[22:23]
	v_add_f64 v[20:21], v[34:35], v[30:31]
	;; [unrolled: 1-line block ×3, first 2 shown]
                                        ; implicit-def: $vgpr34_vgpr35
	v_fma_f64 v[36:37], v[32:33], s[6:7], v[40:41]
	v_fma_f64 v[38:39], v[32:33], s[2:3], v[40:41]
	;; [unrolled: 1-line block ×6, first 2 shown]
	ds_store_2addr_b64 v54, v[84:85], v[36:37] offset1:9
	ds_store_b64 v54, v[38:39] offset:144
	ds_store_2addr_b64 v53, v[20:21], v[22:23] offset1:9
	ds_store_b64 v53, v[24:25] offset:144
	;; [unrolled: 2-line block ×3, first 2 shown]
	s_waitcnt lgkmcnt(0)
	s_barrier
	buffer_gl0_inv
	s_and_saveexec_b32 s1, s0
	s_cbranch_execnz .LBB0_17
; %bb.15:
	s_or_b32 exec_lo, exec_lo, s1
	s_and_b32 s0, vcc_lo, s0
	s_delay_alu instid0(SALU_CYCLE_1)
	s_and_saveexec_b32 s1, s0
	s_cbranch_execnz .LBB0_18
.LBB0_16:
	s_endpgm
.LBB0_17:
	v_add_nc_u32_e32 v32, 0x400, v50
	ds_load_b64 v[84:85], v51
	ds_load_2addr_b64 v[36:39], v50 offset0:27 offset1:54
	ds_load_2addr_b64 v[20:23], v50 offset0:81 offset1:108
	;; [unrolled: 1-line block ×5, first 2 shown]
	s_or_b32 exec_lo, exec_lo, s1
	s_and_b32 s0, vcc_lo, s0
	s_delay_alu instid0(SALU_CYCLE_1)
	s_and_saveexec_b32 s1, s0
	s_cbranch_execz .LBB0_16
.LBB0_18:
	v_mul_u32_u24_e32 v40, 10, v86
	v_add_nc_u32_e32 v129, 54, v86
	v_add_nc_u32_e32 v130, 0x51, v86
	v_mad_u64_u32 v[87:88], null, s8, v86, 0
	v_add_nc_u32_e32 v138, 0x87, v86
	s_delay_alu instid0(VALU_DEP_4)
	v_mad_u64_u32 v[93:94], null, s8, v129, 0
	v_lshlrev_b32_e32 v72, 4, v40
	v_mad_u64_u32 v[95:96], null, s8, v130, 0
	s_clause 0x9
	global_load_b128 v[52:55], v72, s[4:5] offset:288
	global_load_b128 v[48:51], v72, s[4:5] offset:304
	;; [unrolled: 1-line block ×10, first 2 shown]
	v_add_nc_u32_e32 v128, 27, v86
	v_mad_u64_u32 v[99:100], null, s8, v138, 0
	v_add_nc_u32_e32 v139, 0xa2, v86
	v_add_nc_u32_e32 v140, 0xbd, v86
	;; [unrolled: 1-line block ×4, first 2 shown]
	s_mov_b32 s0, 0x9bcd5057
	s_mov_b32 s2, 0x8764f0ba
	v_mad_u64_u32 v[103:104], null, s8, v140, 0
	v_mad_u64_u32 v[97:98], null, s8, v137, 0
	v_add_nc_u32_e32 v143, 0x10e, v86
	v_mad_u64_u32 v[107:108], null, s8, v142, 0
	s_mov_b32 s4, 0xfd768dbf
	s_mov_b32 s12, 0x7f775887
	;; [unrolled: 1-line block ×28, first 2 shown]
	s_waitcnt vmcnt(9) lgkmcnt(4)
	v_mul_f64 v[89:90], v[36:37], v[52:53]
	v_mul_f64 v[91:92], v[36:37], v[54:55]
	s_waitcnt vmcnt(8)
	v_mul_f64 v[111:112], v[38:39], v[48:49]
	v_mul_f64 v[38:39], v[38:39], v[50:51]
	s_waitcnt vmcnt(7) lgkmcnt(0)
	v_mul_f64 v[113:114], v[34:35], v[40:41]
	s_waitcnt vmcnt(5)
	v_mul_f64 v[117:118], v[24:25], v[56:57]
	v_add_co_u32 v37, vcc_lo, s10, v80
	v_add_co_ci_u32_e32 v36, vcc_lo, s11, v81, vcc_lo
	v_mad_u64_u32 v[80:81], null, s8, v128, 0
	v_mul_f64 v[115:116], v[32:33], v[44:45]
	s_waitcnt vmcnt(4)
	v_mul_f64 v[119:120], v[20:21], v[64:65]
	s_waitcnt vmcnt(3)
	v_mul_f64 v[121:122], v[30:31], v[60:61]
	v_mul_f64 v[34:35], v[34:35], v[42:43]
	;; [unrolled: 1-line block ×5, first 2 shown]
	s_waitcnt vmcnt(0)
	v_mul_f64 v[123:124], v[26:27], v[72:73]
	v_mul_f64 v[133:134], v[22:23], v[70:71]
	;; [unrolled: 1-line block ×3, first 2 shown]
	v_fma_f64 v[54:55], v[12:13], v[54:55], v[89:90]
	v_mul_f64 v[89:90], v[22:23], v[68:69]
	v_fma_f64 v[52:53], v[12:13], v[52:53], -v[91:92]
	v_dual_mov_b32 v12, v81 :: v_dual_mov_b32 v13, v94
	v_mov_b32_e32 v81, v96
	v_mov_b32_e32 v96, v104
	v_fma_f64 v[50:51], v[14:15], v[50:51], v[111:112]
	v_fma_f64 v[38:39], v[14:15], v[48:49], -v[38:39]
	v_mul_f64 v[91:92], v[28:29], v[76:77]
	v_mul_f64 v[28:29], v[28:29], v[78:79]
	v_mad_u64_u32 v[109:110], null, s8, v143, 0
	v_fma_f64 v[22:23], v[10:11], v[62:63], v[121:122]
	v_fma_f64 v[10:11], v[10:11], v[60:61], -v[30:31]
	v_fma_f64 v[26:27], v[6:7], v[74:75], v[123:124]
	v_fma_f64 v[30:31], v[2:3], v[68:69], -v[133:134]
	v_fma_f64 v[6:7], v[6:7], v[72:73], -v[135:136]
	v_add_f64 v[48:49], v[84:85], v[54:55]
	v_mad_u64_u32 v[125:126], null, s9, v86, v[88:89]
	v_mad_u64_u32 v[126:127], null, s9, v128, v[12:13]
	;; [unrolled: 1-line block ×4, first 2 shown]
	v_mul_f64 v[129:130], v[20:21], v[66:67]
	v_fma_f64 v[12:13], v[18:19], v[42:43], v[113:114]
	v_fma_f64 v[42:43], v[4:5], v[58:59], v[117:118]
	v_add_f64 v[58:59], v[82:83], v[52:53]
	v_fma_f64 v[20:21], v[16:17], v[46:47], v[115:116]
	v_fma_f64 v[46:47], v[0:1], v[66:67], v[119:120]
	v_fma_f64 v[14:15], v[18:19], v[40:41], -v[34:35]
	v_fma_f64 v[16:17], v[16:17], v[44:45], -v[32:33]
	v_mov_b32_e32 v88, v100
	v_mad_u64_u32 v[101:102], null, s8, v139, 0
	v_dual_mov_b32 v86, v98 :: v_dual_add_nc_u32 v141, 0xd8, v86
	v_mov_b32_e32 v100, v108
	v_fma_f64 v[24:25], v[8:9], v[78:79], v[91:92]
	v_mad_u64_u32 v[78:79], null, s9, v140, v[96:97]
	v_mov_b32_e32 v94, v102
	v_mad_u64_u32 v[105:106], null, s8, v141, 0
	v_mad_u64_u32 v[66:67], null, s9, v137, v[86:87]
	v_mov_b32_e32 v102, v110
	s_delay_alu instid0(VALU_DEP_4)
	v_mad_u64_u32 v[74:75], null, s9, v139, v[94:95]
	v_mov_b32_e32 v94, v127
	v_mov_b32_e32 v98, v106
	;; [unrolled: 1-line block ×3, first 2 shown]
	v_fma_f64 v[62:63], v[2:3], v[70:71], v[89:90]
	v_add_f64 v[44:45], v[50:51], v[48:49]
	v_mad_u64_u32 v[70:71], null, s9, v138, v[88:89]
	v_mad_u64_u32 v[89:90], null, s9, v141, v[98:99]
	;; [unrolled: 1-line block ×4, first 2 shown]
	v_fma_f64 v[18:19], v[0:1], v[64:65], -v[129:130]
	v_mov_b32_e32 v98, v66
	v_fma_f64 v[2:3], v[8:9], v[76:77], -v[28:29]
	v_add_f64 v[48:49], v[38:39], v[58:59]
	v_add_f64 v[8:9], v[54:55], v[12:13]
	v_add_f64 v[32:33], v[54:55], -v[12:13]
	v_lshlrev_b64 v[66:67], 4, v[93:94]
	v_lshlrev_b64 v[68:69], 4, v[95:96]
	v_dual_mov_b32 v88, v125 :: v_dual_mov_b32 v81, v126
	v_mov_b32_e32 v104, v78
	v_mov_b32_e32 v106, v89
	;; [unrolled: 1-line block ×4, first 2 shown]
	v_fma_f64 v[4:5], v[4:5], v[56:57], -v[131:132]
	v_add_f64 v[28:29], v[50:51], v[20:21]
	v_add_f64 v[34:35], v[50:51], -v[20:21]
	v_lshlrev_b64 v[0:1], 4, v[87:88]
	v_lshlrev_b64 v[64:65], 4, v[80:81]
	;; [unrolled: 1-line block ×6, first 2 shown]
	v_add_f64 v[88:89], v[52:53], -v[14:15]
	v_add_f64 v[52:53], v[52:53], v[14:15]
	v_mov_b32_e32 v100, v70
	v_mov_b32_e32 v102, v74
	v_add_f64 v[40:41], v[46:47], v[22:23]
	v_add_f64 v[58:59], v[42:43], v[26:27]
	;; [unrolled: 1-line block ×3, first 2 shown]
	v_add_f64 v[60:61], v[42:43], -v[26:27]
	v_lshlrev_b64 v[72:73], 4, v[99:100]
	v_lshlrev_b64 v[74:75], 4, v[101:102]
	v_add_f64 v[90:91], v[38:39], -v[16:17]
	v_add_f64 v[38:39], v[38:39], v[16:17]
	v_add_f64 v[50:51], v[46:47], -v[22:23]
	v_add_f64 v[54:55], v[62:63], v[24:25]
	v_add_f64 v[56:57], v[62:63], -v[24:25]
	v_add_f64 v[92:93], v[18:19], -v[10:11]
	v_add_f64 v[94:95], v[18:19], v[10:11]
	v_lshlrev_b64 v[70:71], 4, v[97:98]
	v_add_f64 v[18:19], v[18:19], v[48:49]
	v_mul_f64 v[104:105], v[8:9], s[0:1]
	v_mul_f64 v[108:109], v[32:33], s[6:7]
	;; [unrolled: 1-line block ×10, first 2 shown]
	v_add_f64 v[100:101], v[4:5], -v[6:7]
	v_add_f64 v[102:103], v[4:5], v[6:7]
	v_mul_f64 v[106:107], v[28:29], s[2:3]
	v_mul_f64 v[110:111], v[34:35], s[16:17]
	;; [unrolled: 1-line block ×10, first 2 shown]
	v_add_f64 v[96:97], v[30:31], -v[2:3]
	v_mul_f64 v[112:113], v[40:41], s[12:13]
	v_mul_f64 v[128:129], v[40:41], s[2:3]
	v_add_f64 v[44:45], v[62:63], v[44:45]
	v_mul_f64 v[148:149], v[40:41], s[22:23]
	v_mul_f64 v[150:151], v[40:41], s[0:1]
	;; [unrolled: 1-line block ×3, first 2 shown]
	v_add_f64 v[98:99], v[30:31], v[2:3]
	v_mul_f64 v[136:137], v[58:59], s[22:23]
	v_mul_f64 v[46:47], v[50:51], s[20:21]
	;; [unrolled: 1-line block ×7, first 2 shown]
	v_add_f64 v[18:19], v[30:31], v[18:19]
	v_fma_f64 v[176:177], v[88:89], s[4:5], v[104:105]
	v_fma_f64 v[180:181], v[52:53], s[0:1], v[108:109]
	;; [unrolled: 1-line block ×8, first 2 shown]
	v_fma_f64 v[108:109], v[52:53], s[0:1], -v[108:109]
	v_fma_f64 v[120:121], v[88:89], s[20:21], v[120:121]
	v_fma_f64 v[206:207], v[52:53], s[28:29], -v[160:161]
	v_fma_f64 v[124:125], v[52:53], s[12:13], -v[124:125]
	v_fma_f64 v[156:157], v[88:89], s[30:31], v[156:157]
	v_fma_f64 v[160:161], v[52:53], s[28:29], v[160:161]
	;; [unrolled: 1-line block ×7, first 2 shown]
	v_fma_f64 v[110:111], v[38:39], s[2:3], -v[110:111]
	v_fma_f64 v[88:89], v[38:39], s[28:29], v[126:127]
	v_fma_f64 v[126:127], v[38:39], s[28:29], -v[126:127]
	v_fma_f64 v[208:209], v[90:91], s[6:7], v[152:153]
	v_fma_f64 v[152:153], v[90:91], s[4:5], v[152:153]
	;; [unrolled: 1-line block ×3, first 2 shown]
	v_add_f64 v[42:43], v[42:43], v[44:45]
	v_fma_f64 v[44:45], v[52:53], s[22:23], -v[162:163]
	v_fma_f64 v[162:163], v[52:53], s[22:23], v[162:163]
	v_fma_f64 v[154:155], v[90:91], s[20:21], v[154:155]
	;; [unrolled: 1-line block ×5, first 2 shown]
	v_fma_f64 v[166:167], v[38:39], s[12:13], -v[166:167]
	v_fma_f64 v[216:217], v[38:39], s[22:23], v[34:35]
	v_fma_f64 v[34:35], v[38:39], s[22:23], -v[34:35]
	v_mul_f64 v[30:31], v[50:51], s[26:27]
	v_mul_f64 v[50:51], v[50:51], s[34:35]
	v_add_f64 v[4:5], v[4:5], v[18:19]
	v_fma_f64 v[18:19], v[52:53], s[2:3], -v[32:33]
	v_fma_f64 v[32:33], v[52:53], s[2:3], v[32:33]
	v_fma_f64 v[52:53], v[90:91], s[34:35], v[122:123]
	;; [unrolled: 1-line block ×4, first 2 shown]
	v_fma_f64 v[164:165], v[38:39], s[0:1], -v[164:165]
	v_add_f64 v[38:39], v[84:85], v[176:177]
	v_add_f64 v[176:177], v[82:83], v[180:181]
	;; [unrolled: 1-line block ×13, first 2 shown]
	v_mul_f64 v[146:147], v[54:55], s[28:29]
	v_mul_f64 v[54:55], v[54:55], s[12:13]
	;; [unrolled: 1-line block ×6, first 2 shown]
	v_add_f64 v[26:27], v[26:27], v[42:43]
	v_add_f64 v[42:43], v[82:83], v[206:207]
	v_fma_f64 v[206:207], v[92:93], s[30:31], v[40:41]
	v_fma_f64 v[40:41], v[92:93], s[34:35], v[40:41]
	v_mul_f64 v[56:57], v[56:57], s[20:21]
	v_fma_f64 v[184:185], v[92:93], s[18:19], v[112:113]
	v_fma_f64 v[186:187], v[94:95], s[12:13], v[46:47]
	;; [unrolled: 1-line block ×3, first 2 shown]
	v_fma_f64 v[46:47], v[94:95], s[12:13], -v[46:47]
	v_fma_f64 v[204:205], v[92:93], s[6:7], v[150:151]
	v_fma_f64 v[150:151], v[92:93], s[4:5], v[150:151]
	;; [unrolled: 1-line block ×3, first 2 shown]
	v_add_f64 v[4:5], v[6:7], v[4:5]
	v_add_f64 v[6:7], v[82:83], v[18:19]
	;; [unrolled: 1-line block ×7, first 2 shown]
	v_fma_f64 v[82:83], v[92:93], s[16:17], v[128:129]
	v_fma_f64 v[50:51], v[94:95], s[28:29], -v[50:51]
	v_add_f64 v[52:53], v[52:53], v[180:181]
	v_fma_f64 v[218:219], v[94:95], s[0:1], v[62:63]
	v_fma_f64 v[62:63], v[94:95], s[0:1], -v[62:63]
	v_fma_f64 v[128:129], v[92:93], s[14:15], v[128:129]
	v_add_f64 v[28:29], v[28:29], v[202:203]
	v_add_f64 v[104:105], v[106:107], v[104:105]
	;; [unrolled: 1-line block ×5, first 2 shown]
	v_fma_f64 v[162:163], v[92:93], s[24:25], v[148:149]
	v_fma_f64 v[148:149], v[92:93], s[26:27], v[148:149]
	;; [unrolled: 1-line block ×3, first 2 shown]
	v_fma_f64 v[30:31], v[94:95], s[22:23], -v[30:31]
	v_add_f64 v[120:121], v[152:153], v[198:199]
	v_fma_f64 v[84:85], v[94:95], s[2:3], v[130:131]
	v_fma_f64 v[130:131], v[94:95], s[2:3], -v[130:131]
	v_add_f64 v[88:89], v[88:89], v[196:197]
	v_add_f64 v[24:25], v[24:25], v[26:27]
	v_add_f64 v[110:111], v[126:127], v[124:125]
	v_add_f64 v[38:39], v[178:179], v[38:39]
	v_add_f64 v[94:95], v[182:183], v[176:177]
	v_add_f64 v[8:9], v[212:213], v[8:9]
	v_fma_f64 v[154:155], v[96:97], s[18:19], v[54:55]
	v_fma_f64 v[54:55], v[96:97], s[20:21], v[54:55]
	v_mul_f64 v[116:117], v[58:59], s[28:29]
	v_mul_f64 v[118:119], v[60:61], s[34:35]
	;; [unrolled: 1-line block ×5, first 2 shown]
	v_add_f64 v[2:3], v[2:3], v[4:5]
	v_add_f64 v[4:5], v[34:35], v[6:7]
	;; [unrolled: 1-line block ×9, first 2 shown]
	v_fma_f64 v[90:91], v[96:97], s[4:5], v[132:133]
	v_add_f64 v[52:53], v[82:83], v[52:53]
	v_mul_f64 v[58:59], v[58:59], s[0:1]
	v_mul_f64 v[172:173], v[60:61], s[20:21]
	v_add_f64 v[28:29], v[40:41], v[28:29]
	v_mul_f64 v[174:175], v[60:61], s[16:17]
	v_mul_f64 v[60:61], v[60:61], s[6:7]
	v_fma_f64 v[164:165], v[98:99], s[12:13], v[56:57]
	v_fma_f64 v[56:57], v[98:99], s[12:13], -v[56:57]
	v_fma_f64 v[188:189], v[96:97], s[24:25], v[48:49]
	v_fma_f64 v[190:191], v[98:99], s[22:23], v[114:115]
	;; [unrolled: 1-line block ×3, first 2 shown]
	v_fma_f64 v[114:115], v[98:99], s[22:23], -v[114:115]
	v_fma_f64 v[124:125], v[98:99], s[0:1], v[134:135]
	v_fma_f64 v[126:127], v[96:97], s[6:7], v[132:133]
	v_fma_f64 v[132:133], v[98:99], s[0:1], -v[134:135]
	v_fma_f64 v[134:135], v[96:97], s[16:17], v[144:145]
	v_add_f64 v[22:23], v[22:23], v[24:25]
	v_fma_f64 v[144:145], v[96:97], s[14:15], v[144:145]
	v_fma_f64 v[152:153], v[96:97], s[34:35], v[146:147]
	;; [unrolled: 1-line block ×4, first 2 shown]
	v_fma_f64 v[156:157], v[98:99], s[2:3], -v[168:169]
	v_fma_f64 v[158:159], v[98:99], s[28:29], v[170:171]
	v_fma_f64 v[160:161], v[98:99], s[28:29], -v[170:171]
	v_add_f64 v[98:99], v[112:113], v[104:105]
	v_add_f64 v[46:47], v[46:47], v[106:107]
	;; [unrolled: 1-line block ×19, first 2 shown]
	v_fma_f64 v[34:35], v[100:101], s[24:25], v[136:137]
	v_add_f64 v[52:53], v[90:91], v[52:53]
	v_add_f64 v[28:29], v[54:55], v[28:29]
	v_fma_f64 v[110:111], v[100:101], s[4:5], v[58:59]
	v_fma_f64 v[58:59], v[100:101], s[6:7], v[58:59]
	;; [unrolled: 1-line block ×3, first 2 shown]
	v_fma_f64 v[60:61], v[102:103], s[0:1], -v[60:61]
	v_fma_f64 v[192:193], v[100:101], s[30:31], v[116:117]
	v_fma_f64 v[194:195], v[102:103], s[28:29], v[118:119]
	;; [unrolled: 1-line block ×3, first 2 shown]
	v_fma_f64 v[118:119], v[102:103], s[28:29], -v[118:119]
	v_add_f64 v[20:21], v[20:21], v[22:23]
	v_fma_f64 v[40:41], v[102:103], s[22:23], v[138:139]
	v_fma_f64 v[42:43], v[100:101], s[26:27], v[136:137]
	v_fma_f64 v[44:45], v[102:103], s[22:23], -v[138:139]
	v_fma_f64 v[50:51], v[100:101], s[18:19], v[140:141]
	v_fma_f64 v[62:63], v[100:101], s[20:21], v[140:141]
	;; [unrolled: 1-line block ×5, first 2 shown]
	v_fma_f64 v[112:113], v[102:103], s[12:13], -v[172:173]
	v_fma_f64 v[120:121], v[102:103], s[2:3], v[174:175]
	v_fma_f64 v[122:123], v[102:103], s[2:3], -v[174:175]
	v_add_f64 v[54:55], v[16:17], v[2:3]
	v_add_f64 v[56:57], v[56:57], v[4:5]
	v_add_f64 v[48:49], v[48:49], v[98:99]
	v_add_f64 v[98:99], v[146:147], v[106:107]
	v_add_f64 v[102:103], v[160:161], v[6:7]
	v_add_f64 v[90:91], v[144:145], v[104:105]
	v_add_f64 v[104:105], v[156:157], v[10:11]
	v_add_f64 v[84:85], v[126:127], v[84:85]
	v_add_f64 v[88:89], v[132:133], v[88:89]
	v_add_f64 v[46:47], v[114:115], v[46:47]
	v_add_f64 v[38:39], v[188:189], v[38:39]
	v_add_f64 v[94:95], v[190:191], v[94:95]
	v_add_f64 v[82:83], v[124:125], v[82:83]
	v_add_f64 v[106:107], v[134:135], v[18:19]
	v_add_f64 v[96:97], v[96:97], v[24:25]
	v_add_f64 v[114:115], v[152:153], v[26:27]
	v_add_f64 v[124:125], v[158:159], v[30:31]
	v_add_f64 v[126:127], v[154:155], v[8:9]
	v_add_f64 v[130:131], v[164:165], v[32:33]
	v_add_f64 v[10:11], v[34:35], v[52:53]
	v_add_f64 v[30:31], v[58:59], v[28:29]
	v_add_co_u32 v132, vcc_lo, v37, v0
	v_add_co_ci_u32_e32 v133, vcc_lo, v36, v1, vcc_lo
	v_add_co_u32 v64, vcc_lo, v37, v64
	v_add_f64 v[34:35], v[12:13], v[20:21]
	v_add_co_ci_u32_e32 v65, vcc_lo, v36, v65, vcc_lo
	v_add_co_u32 v66, vcc_lo, v37, v66
	v_add_co_ci_u32_e32 v67, vcc_lo, v36, v67, vcc_lo
	v_add_co_u32 v68, vcc_lo, v37, v68
	v_add_co_ci_u32_e32 v69, vcc_lo, v36, v69, vcc_lo
	v_add_f64 v[32:33], v[14:15], v[54:55]
	v_add_f64 v[28:29], v[60:61], v[56:57]
	;; [unrolled: 1-line block ×19, first 2 shown]
	v_add_co_u32 v46, vcc_lo, v37, v70
	v_add_co_ci_u32_e32 v47, vcc_lo, v36, v71, vcc_lo
	v_add_co_u32 v48, vcc_lo, v37, v72
	v_add_co_ci_u32_e32 v49, vcc_lo, v36, v73, vcc_lo
	;; [unrolled: 2-line block ×7, first 2 shown]
	s_clause 0xa
	global_store_b128 v[132:133], v[32:35], off
	global_store_b128 v[64:65], v[28:31], off
	;; [unrolled: 1-line block ×11, first 2 shown]
	s_nop 0
	s_sendmsg sendmsg(MSG_DEALLOC_VGPRS)
	s_endpgm
	.section	.rodata,"a",@progbits
	.p2align	6, 0x0
	.amdhsa_kernel fft_rtc_fwd_len297_factors_9_3_11_wgs_231_tpt_33_halfLds_dp_ip_CI_sbrr_dirReg
		.amdhsa_group_segment_fixed_size 0
		.amdhsa_private_segment_fixed_size 0
		.amdhsa_kernarg_size 88
		.amdhsa_user_sgpr_count 15
		.amdhsa_user_sgpr_dispatch_ptr 0
		.amdhsa_user_sgpr_queue_ptr 0
		.amdhsa_user_sgpr_kernarg_segment_ptr 1
		.amdhsa_user_sgpr_dispatch_id 0
		.amdhsa_user_sgpr_private_segment_size 0
		.amdhsa_wavefront_size32 1
		.amdhsa_uses_dynamic_stack 0
		.amdhsa_enable_private_segment 0
		.amdhsa_system_sgpr_workgroup_id_x 1
		.amdhsa_system_sgpr_workgroup_id_y 0
		.amdhsa_system_sgpr_workgroup_id_z 0
		.amdhsa_system_sgpr_workgroup_info 0
		.amdhsa_system_vgpr_workitem_id 0
		.amdhsa_next_free_vgpr 222
		.amdhsa_next_free_sgpr 36
		.amdhsa_reserve_vcc 1
		.amdhsa_float_round_mode_32 0
		.amdhsa_float_round_mode_16_64 0
		.amdhsa_float_denorm_mode_32 3
		.amdhsa_float_denorm_mode_16_64 3
		.amdhsa_dx10_clamp 1
		.amdhsa_ieee_mode 1
		.amdhsa_fp16_overflow 0
		.amdhsa_workgroup_processor_mode 1
		.amdhsa_memory_ordered 1
		.amdhsa_forward_progress 0
		.amdhsa_shared_vgpr_count 0
		.amdhsa_exception_fp_ieee_invalid_op 0
		.amdhsa_exception_fp_denorm_src 0
		.amdhsa_exception_fp_ieee_div_zero 0
		.amdhsa_exception_fp_ieee_overflow 0
		.amdhsa_exception_fp_ieee_underflow 0
		.amdhsa_exception_fp_ieee_inexact 0
		.amdhsa_exception_int_div_zero 0
	.end_amdhsa_kernel
	.text
.Lfunc_end0:
	.size	fft_rtc_fwd_len297_factors_9_3_11_wgs_231_tpt_33_halfLds_dp_ip_CI_sbrr_dirReg, .Lfunc_end0-fft_rtc_fwd_len297_factors_9_3_11_wgs_231_tpt_33_halfLds_dp_ip_CI_sbrr_dirReg
                                        ; -- End function
	.section	.AMDGPU.csdata,"",@progbits
; Kernel info:
; codeLenInByte = 8200
; NumSgprs: 38
; NumVgprs: 222
; ScratchSize: 0
; MemoryBound: 1
; FloatMode: 240
; IeeeMode: 1
; LDSByteSize: 0 bytes/workgroup (compile time only)
; SGPRBlocks: 4
; VGPRBlocks: 27
; NumSGPRsForWavesPerEU: 38
; NumVGPRsForWavesPerEU: 222
; Occupancy: 6
; WaveLimiterHint : 1
; COMPUTE_PGM_RSRC2:SCRATCH_EN: 0
; COMPUTE_PGM_RSRC2:USER_SGPR: 15
; COMPUTE_PGM_RSRC2:TRAP_HANDLER: 0
; COMPUTE_PGM_RSRC2:TGID_X_EN: 1
; COMPUTE_PGM_RSRC2:TGID_Y_EN: 0
; COMPUTE_PGM_RSRC2:TGID_Z_EN: 0
; COMPUTE_PGM_RSRC2:TIDIG_COMP_CNT: 0
	.text
	.p2alignl 7, 3214868480
	.fill 96, 4, 3214868480
	.type	__hip_cuid_1d4543ba62ba8bbd,@object ; @__hip_cuid_1d4543ba62ba8bbd
	.section	.bss,"aw",@nobits
	.globl	__hip_cuid_1d4543ba62ba8bbd
__hip_cuid_1d4543ba62ba8bbd:
	.byte	0                               ; 0x0
	.size	__hip_cuid_1d4543ba62ba8bbd, 1

	.ident	"AMD clang version 19.0.0git (https://github.com/RadeonOpenCompute/llvm-project roc-6.4.0 25133 c7fe45cf4b819c5991fe208aaa96edf142730f1d)"
	.section	".note.GNU-stack","",@progbits
	.addrsig
	.addrsig_sym __hip_cuid_1d4543ba62ba8bbd
	.amdgpu_metadata
---
amdhsa.kernels:
  - .args:
      - .actual_access:  read_only
        .address_space:  global
        .offset:         0
        .size:           8
        .value_kind:     global_buffer
      - .offset:         8
        .size:           8
        .value_kind:     by_value
      - .actual_access:  read_only
        .address_space:  global
        .offset:         16
        .size:           8
        .value_kind:     global_buffer
      - .actual_access:  read_only
        .address_space:  global
        .offset:         24
        .size:           8
        .value_kind:     global_buffer
      - .offset:         32
        .size:           8
        .value_kind:     by_value
      - .actual_access:  read_only
        .address_space:  global
        .offset:         40
        .size:           8
        .value_kind:     global_buffer
      - .actual_access:  read_only
        .address_space:  global
        .offset:         48
        .size:           8
        .value_kind:     global_buffer
      - .offset:         56
        .size:           4
        .value_kind:     by_value
      - .actual_access:  read_only
        .address_space:  global
        .offset:         64
        .size:           8
        .value_kind:     global_buffer
      - .actual_access:  read_only
        .address_space:  global
        .offset:         72
        .size:           8
        .value_kind:     global_buffer
      - .address_space:  global
        .offset:         80
        .size:           8
        .value_kind:     global_buffer
    .group_segment_fixed_size: 0
    .kernarg_segment_align: 8
    .kernarg_segment_size: 88
    .language:       OpenCL C
    .language_version:
      - 2
      - 0
    .max_flat_workgroup_size: 231
    .name:           fft_rtc_fwd_len297_factors_9_3_11_wgs_231_tpt_33_halfLds_dp_ip_CI_sbrr_dirReg
    .private_segment_fixed_size: 0
    .sgpr_count:     38
    .sgpr_spill_count: 0
    .symbol:         fft_rtc_fwd_len297_factors_9_3_11_wgs_231_tpt_33_halfLds_dp_ip_CI_sbrr_dirReg.kd
    .uniform_work_group_size: 1
    .uses_dynamic_stack: false
    .vgpr_count:     222
    .vgpr_spill_count: 0
    .wavefront_size: 32
    .workgroup_processor_mode: 1
amdhsa.target:   amdgcn-amd-amdhsa--gfx1100
amdhsa.version:
  - 1
  - 2
...

	.end_amdgpu_metadata
